;; amdgpu-corpus repo=zjin-lcf/HeCBench kind=compiled arch=gfx906 opt=O3
	.amdgcn_target "amdgcn-amd-amdhsa--gfx906"
	.amdhsa_code_object_version 6
	.text
	.protected	_Z12atomicKernelPii     ; -- Begin function _Z12atomicKernelPii
	.globl	_Z12atomicKernelPii
	.p2align	8
	.type	_Z12atomicKernelPii,@function
_Z12atomicKernelPii:                    ; @_Z12atomicKernelPii
; %bb.0:
	s_load_dword s7, s[4:5], 0x8
	s_waitcnt lgkmcnt(0)
	s_cmp_lt_i32 s7, 1
	s_cbranch_scc1 .LBB0_35
; %bb.1:
	s_load_dword s2, s[4:5], 0x1c
	s_load_dwordx2 s[0:1], s[4:5], 0x0
	s_mov_b32 s8, 0
	v_mov_b32_e32 v6, 0
	s_waitcnt lgkmcnt(0)
	s_and_b32 s2, s2, 0xffff
	s_mul_i32 s6, s6, s2
	v_add_u32_e32 v0, s6, v0
	v_add_u32_e32 v1, -1, v0
	v_lshl_add_u32 v4, v0, 1, 7
	v_lshlrev_b32_e64 v5, v0, 1
	s_branch .LBB0_3
.LBB0_2:                                ;   in Loop: Header=BB0_3 Depth=1
	s_or_b64 exec, exec, s[2:3]
	s_add_i32 s8, s8, 1
	s_cmp_eq_u32 s8, s7
	s_cbranch_scc1 .LBB0_35
.LBB0_3:                                ; =>This Loop Header: Depth=1
                                        ;     Child Loop BB0_6 Depth 2
                                        ;     Child Loop BB0_9 Depth 2
	;; [unrolled: 1-line block ×10, first 2 shown]
	s_mov_b64 s[4:5], exec
	v_mbcnt_lo_u32_b32 v2, s4, 0
	v_mbcnt_hi_u32_b32 v2, s5, v2
	v_cmp_eq_u32_e32 vcc, 0, v2
	s_and_saveexec_b64 s[2:3], vcc
	s_cbranch_execz .LBB0_5
; %bb.4:                                ;   in Loop: Header=BB0_3 Depth=1
	s_bcnt1_i32_b64 s4, s[4:5]
	s_mul_i32 s4, s4, 10
	v_mov_b32_e32 v2, s4
	global_atomic_add v6, v2, s[0:1]
.LBB0_5:                                ;   in Loop: Header=BB0_3 Depth=1
	s_or_b64 exec, exec, s[2:3]
	global_atomic_swap v6, v0, s[0:1] offset:4
	s_mov_b64 s[2:3], exec
	s_brev_b32 s6, 1
.LBB0_6:                                ;   Parent Loop BB0_3 Depth=1
                                        ; =>  This Inner Loop Header: Depth=2
	s_ff1_i32_b64 s4, s[2:3]
	v_readlane_b32 s9, v0, s4
	s_lshl_b64 s[4:5], 1, s4
	s_max_i32 s6, s6, s9
	s_andn2_b64 s[2:3], s[2:3], s[4:5]
	s_cmp_lg_u64 s[2:3], 0
	s_cbranch_scc1 .LBB0_6
; %bb.7:                                ;   in Loop: Header=BB0_3 Depth=1
	v_mbcnt_lo_u32_b32 v2, exec_lo, 0
	v_mbcnt_hi_u32_b32 v2, exec_hi, v2
	v_cmp_eq_u32_e32 vcc, 0, v2
	s_and_saveexec_b64 s[2:3], vcc
	s_xor_b64 s[2:3], exec, s[2:3]
	s_cbranch_execz .LBB0_11
; %bb.8:                                ;   in Loop: Header=BB0_3 Depth=1
	global_load_dword v3, v6, s[0:1] offset:8
	s_mov_b64 s[4:5], 0
.LBB0_9:                                ;   Parent Loop BB0_3 Depth=1
                                        ; =>  This Inner Loop Header: Depth=2
	s_waitcnt vmcnt(0)
	v_max_i32_e32 v2, s6, v3
	global_atomic_cmpswap v2, v6, v[2:3], s[0:1] offset:8 glc
	s_waitcnt vmcnt(0)
	v_cmp_eq_u32_e32 vcc, v2, v3
	s_or_b64 s[4:5], vcc, s[4:5]
	v_mov_b32_e32 v3, v2
	s_andn2_b64 exec, exec, s[4:5]
	s_cbranch_execnz .LBB0_9
; %bb.10:                               ;   in Loop: Header=BB0_3 Depth=1
	s_or_b64 exec, exec, s[4:5]
.LBB0_11:                               ;   in Loop: Header=BB0_3 Depth=1
	s_or_b64 exec, exec, s[2:3]
	s_mov_b64 s[2:3], exec
	s_brev_b32 s6, -2
.LBB0_12:                               ;   Parent Loop BB0_3 Depth=1
                                        ; =>  This Inner Loop Header: Depth=2
	s_ff1_i32_b64 s4, s[2:3]
	v_readlane_b32 s9, v0, s4
	s_lshl_b64 s[4:5], 1, s4
	s_min_i32 s6, s6, s9
	s_andn2_b64 s[2:3], s[2:3], s[4:5]
	s_cmp_lg_u64 s[2:3], 0
	s_cbranch_scc1 .LBB0_12
; %bb.13:                               ;   in Loop: Header=BB0_3 Depth=1
	v_mbcnt_lo_u32_b32 v2, exec_lo, 0
	v_mbcnt_hi_u32_b32 v2, exec_hi, v2
	v_cmp_eq_u32_e32 vcc, 0, v2
	s_and_saveexec_b64 s[2:3], vcc
	s_xor_b64 s[2:3], exec, s[2:3]
	s_cbranch_execz .LBB0_17
; %bb.14:                               ;   in Loop: Header=BB0_3 Depth=1
	global_load_dword v3, v6, s[0:1] offset:12
	s_mov_b64 s[4:5], 0
.LBB0_15:                               ;   Parent Loop BB0_3 Depth=1
                                        ; =>  This Inner Loop Header: Depth=2
	s_waitcnt vmcnt(0)
	v_min_i32_e32 v2, s6, v3
	global_atomic_cmpswap v2, v6, v[2:3], s[0:1] offset:12 glc
	s_waitcnt vmcnt(0)
	v_cmp_eq_u32_e32 vcc, v2, v3
	s_or_b64 s[4:5], vcc, s[4:5]
	v_mov_b32_e32 v3, v2
	s_andn2_b64 exec, exec, s[4:5]
	s_cbranch_execnz .LBB0_15
; %bb.16:                               ;   in Loop: Header=BB0_3 Depth=1
	s_or_b64 exec, exec, s[4:5]
.LBB0_17:                               ;   in Loop: Header=BB0_3 Depth=1
	s_or_b64 exec, exec, s[2:3]
	global_atomic_cmpswap v6, v[0:1], s[0:1] offset:24
	s_mov_b64 s[2:3], exec
	s_mov_b32 s6, -1
.LBB0_18:                               ;   Parent Loop BB0_3 Depth=1
                                        ; =>  This Inner Loop Header: Depth=2
	s_ff1_i32_b64 s4, s[2:3]
	v_readlane_b32 s9, v4, s4
	s_lshl_b64 s[4:5], 1, s4
	s_and_b32 s6, s6, s9
	s_andn2_b64 s[2:3], s[2:3], s[4:5]
	s_cmp_lg_u64 s[2:3], 0
	s_cbranch_scc1 .LBB0_18
; %bb.19:                               ;   in Loop: Header=BB0_3 Depth=1
	v_mbcnt_lo_u32_b32 v2, exec_lo, 0
	v_mbcnt_hi_u32_b32 v2, exec_hi, v2
	v_cmp_eq_u32_e32 vcc, 0, v2
	s_and_saveexec_b64 s[2:3], vcc
	s_xor_b64 s[2:3], exec, s[2:3]
	s_cbranch_execz .LBB0_23
; %bb.20:                               ;   in Loop: Header=BB0_3 Depth=1
	global_load_dword v3, v6, s[0:1] offset:28
	s_mov_b64 s[4:5], 0
.LBB0_21:                               ;   Parent Loop BB0_3 Depth=1
                                        ; =>  This Inner Loop Header: Depth=2
	s_waitcnt vmcnt(0)
	v_and_b32_e32 v2, s6, v3
	global_atomic_cmpswap v2, v6, v[2:3], s[0:1] offset:28 glc
	s_waitcnt vmcnt(0)
	v_cmp_eq_u32_e32 vcc, v2, v3
	s_or_b64 s[4:5], vcc, s[4:5]
	v_mov_b32_e32 v3, v2
	s_andn2_b64 exec, exec, s[4:5]
	s_cbranch_execnz .LBB0_21
; %bb.22:                               ;   in Loop: Header=BB0_3 Depth=1
	s_or_b64 exec, exec, s[4:5]
.LBB0_23:                               ;   in Loop: Header=BB0_3 Depth=1
	s_or_b64 exec, exec, s[2:3]
	s_mov_b64 s[2:3], exec
	s_mov_b32 s6, 0
.LBB0_24:                               ;   Parent Loop BB0_3 Depth=1
                                        ; =>  This Inner Loop Header: Depth=2
	s_ff1_i32_b64 s4, s[2:3]
	v_readlane_b32 s9, v5, s4
	s_lshl_b64 s[4:5], 1, s4
	s_or_b32 s6, s6, s9
	s_andn2_b64 s[2:3], s[2:3], s[4:5]
	s_cmp_lg_u64 s[2:3], 0
	s_cbranch_scc1 .LBB0_24
; %bb.25:                               ;   in Loop: Header=BB0_3 Depth=1
	v_mbcnt_lo_u32_b32 v2, exec_lo, 0
	v_mbcnt_hi_u32_b32 v2, exec_hi, v2
	v_cmp_eq_u32_e32 vcc, 0, v2
	s_and_saveexec_b64 s[2:3], vcc
	s_xor_b64 s[2:3], exec, s[2:3]
	s_cbranch_execz .LBB0_29
; %bb.26:                               ;   in Loop: Header=BB0_3 Depth=1
	global_load_dword v3, v6, s[0:1] offset:32
	s_mov_b64 s[4:5], 0
.LBB0_27:                               ;   Parent Loop BB0_3 Depth=1
                                        ; =>  This Inner Loop Header: Depth=2
	s_waitcnt vmcnt(0)
	v_or_b32_e32 v2, s6, v3
	global_atomic_cmpswap v2, v6, v[2:3], s[0:1] offset:32 glc
	s_waitcnt vmcnt(0)
	v_cmp_eq_u32_e32 vcc, v2, v3
	s_or_b64 s[4:5], vcc, s[4:5]
	v_mov_b32_e32 v3, v2
	s_andn2_b64 exec, exec, s[4:5]
	s_cbranch_execnz .LBB0_27
; %bb.28:                               ;   in Loop: Header=BB0_3 Depth=1
	s_or_b64 exec, exec, s[4:5]
.LBB0_29:                               ;   in Loop: Header=BB0_3 Depth=1
	s_or_b64 exec, exec, s[2:3]
	s_mov_b64 s[2:3], exec
	s_mov_b32 s6, 0
.LBB0_30:                               ;   Parent Loop BB0_3 Depth=1
                                        ; =>  This Inner Loop Header: Depth=2
	s_ff1_i32_b64 s4, s[2:3]
	v_readlane_b32 s9, v0, s4
	s_lshl_b64 s[4:5], 1, s4
	s_xor_b32 s6, s6, s9
	s_andn2_b64 s[2:3], s[2:3], s[4:5]
	s_cmp_lg_u64 s[2:3], 0
	s_cbranch_scc1 .LBB0_30
; %bb.31:                               ;   in Loop: Header=BB0_3 Depth=1
	v_mbcnt_lo_u32_b32 v2, exec_lo, 0
	v_mbcnt_hi_u32_b32 v2, exec_hi, v2
	v_cmp_eq_u32_e32 vcc, 0, v2
	s_and_saveexec_b64 s[2:3], vcc
	s_xor_b64 s[2:3], exec, s[2:3]
	s_cbranch_execz .LBB0_2
; %bb.32:                               ;   in Loop: Header=BB0_3 Depth=1
	global_load_dword v3, v6, s[0:1] offset:36
	s_mov_b64 s[4:5], 0
.LBB0_33:                               ;   Parent Loop BB0_3 Depth=1
                                        ; =>  This Inner Loop Header: Depth=2
	s_waitcnt vmcnt(0)
	v_xor_b32_e32 v2, s6, v3
	global_atomic_cmpswap v2, v6, v[2:3], s[0:1] offset:36 glc
	s_waitcnt vmcnt(0)
	v_cmp_eq_u32_e32 vcc, v2, v3
	s_or_b64 s[4:5], vcc, s[4:5]
	v_mov_b32_e32 v3, v2
	s_andn2_b64 exec, exec, s[4:5]
	s_cbranch_execnz .LBB0_33
; %bb.34:                               ;   in Loop: Header=BB0_3 Depth=1
	s_or_b64 exec, exec, s[4:5]
	s_branch .LBB0_2
.LBB0_35:
	s_endpgm
	.section	.rodata,"a",@progbits
	.p2align	6, 0x0
	.amdhsa_kernel _Z12atomicKernelPii
		.amdhsa_group_segment_fixed_size 0
		.amdhsa_private_segment_fixed_size 0
		.amdhsa_kernarg_size 272
		.amdhsa_user_sgpr_count 6
		.amdhsa_user_sgpr_private_segment_buffer 1
		.amdhsa_user_sgpr_dispatch_ptr 0
		.amdhsa_user_sgpr_queue_ptr 0
		.amdhsa_user_sgpr_kernarg_segment_ptr 1
		.amdhsa_user_sgpr_dispatch_id 0
		.amdhsa_user_sgpr_flat_scratch_init 0
		.amdhsa_user_sgpr_private_segment_size 0
		.amdhsa_uses_dynamic_stack 0
		.amdhsa_system_sgpr_private_segment_wavefront_offset 0
		.amdhsa_system_sgpr_workgroup_id_x 1
		.amdhsa_system_sgpr_workgroup_id_y 0
		.amdhsa_system_sgpr_workgroup_id_z 0
		.amdhsa_system_sgpr_workgroup_info 0
		.amdhsa_system_vgpr_workitem_id 0
		.amdhsa_next_free_vgpr 7
		.amdhsa_next_free_sgpr 10
		.amdhsa_reserve_vcc 1
		.amdhsa_reserve_flat_scratch 0
		.amdhsa_float_round_mode_32 0
		.amdhsa_float_round_mode_16_64 0
		.amdhsa_float_denorm_mode_32 3
		.amdhsa_float_denorm_mode_16_64 3
		.amdhsa_dx10_clamp 1
		.amdhsa_ieee_mode 1
		.amdhsa_fp16_overflow 0
		.amdhsa_exception_fp_ieee_invalid_op 0
		.amdhsa_exception_fp_denorm_src 0
		.amdhsa_exception_fp_ieee_div_zero 0
		.amdhsa_exception_fp_ieee_overflow 0
		.amdhsa_exception_fp_ieee_underflow 0
		.amdhsa_exception_fp_ieee_inexact 0
		.amdhsa_exception_int_div_zero 0
	.end_amdhsa_kernel
	.text
.Lfunc_end0:
	.size	_Z12atomicKernelPii, .Lfunc_end0-_Z12atomicKernelPii
                                        ; -- End function
	.set _Z12atomicKernelPii.num_vgpr, 7
	.set _Z12atomicKernelPii.num_agpr, 0
	.set _Z12atomicKernelPii.numbered_sgpr, 10
	.set _Z12atomicKernelPii.num_named_barrier, 0
	.set _Z12atomicKernelPii.private_seg_size, 0
	.set _Z12atomicKernelPii.uses_vcc, 1
	.set _Z12atomicKernelPii.uses_flat_scratch, 0
	.set _Z12atomicKernelPii.has_dyn_sized_stack, 0
	.set _Z12atomicKernelPii.has_recursion, 0
	.set _Z12atomicKernelPii.has_indirect_call, 0
	.section	.AMDGPU.csdata,"",@progbits
; Kernel info:
; codeLenInByte = 840
; TotalNumSgprs: 14
; NumVgprs: 7
; ScratchSize: 0
; MemoryBound: 0
; FloatMode: 240
; IeeeMode: 1
; LDSByteSize: 0 bytes/workgroup (compile time only)
; SGPRBlocks: 1
; VGPRBlocks: 1
; NumSGPRsForWavesPerEU: 14
; NumVGPRsForWavesPerEU: 7
; Occupancy: 10
; WaveLimiterHint : 0
; COMPUTE_PGM_RSRC2:SCRATCH_EN: 0
; COMPUTE_PGM_RSRC2:USER_SGPR: 6
; COMPUTE_PGM_RSRC2:TRAP_HANDLER: 0
; COMPUTE_PGM_RSRC2:TGID_X_EN: 1
; COMPUTE_PGM_RSRC2:TGID_Y_EN: 0
; COMPUTE_PGM_RSRC2:TGID_Z_EN: 0
; COMPUTE_PGM_RSRC2:TIDIG_COMP_CNT: 0
	.section	.AMDGPU.gpr_maximums,"",@progbits
	.set amdgpu.max_num_vgpr, 0
	.set amdgpu.max_num_agpr, 0
	.set amdgpu.max_num_sgpr, 0
	.section	.AMDGPU.csdata,"",@progbits
	.type	__hip_cuid_47754ee83180c8d8,@object ; @__hip_cuid_47754ee83180c8d8
	.section	.bss,"aw",@nobits
	.globl	__hip_cuid_47754ee83180c8d8
__hip_cuid_47754ee83180c8d8:
	.byte	0                               ; 0x0
	.size	__hip_cuid_47754ee83180c8d8, 1

	.ident	"AMD clang version 22.0.0git (https://github.com/RadeonOpenCompute/llvm-project roc-7.2.4 26084 f58b06dce1f9c15707c5f808fd002e18c2accf7e)"
	.section	".note.GNU-stack","",@progbits
	.addrsig
	.addrsig_sym __hip_cuid_47754ee83180c8d8
	.amdgpu_metadata
---
amdhsa.kernels:
  - .args:
      - .address_space:  global
        .offset:         0
        .size:           8
        .value_kind:     global_buffer
      - .offset:         8
        .size:           4
        .value_kind:     by_value
      - .offset:         16
        .size:           4
        .value_kind:     hidden_block_count_x
      - .offset:         20
        .size:           4
        .value_kind:     hidden_block_count_y
      - .offset:         24
        .size:           4
        .value_kind:     hidden_block_count_z
      - .offset:         28
        .size:           2
        .value_kind:     hidden_group_size_x
      - .offset:         30
        .size:           2
        .value_kind:     hidden_group_size_y
      - .offset:         32
        .size:           2
        .value_kind:     hidden_group_size_z
      - .offset:         34
        .size:           2
        .value_kind:     hidden_remainder_x
      - .offset:         36
        .size:           2
        .value_kind:     hidden_remainder_y
      - .offset:         38
        .size:           2
        .value_kind:     hidden_remainder_z
      - .offset:         56
        .size:           8
        .value_kind:     hidden_global_offset_x
      - .offset:         64
        .size:           8
        .value_kind:     hidden_global_offset_y
      - .offset:         72
        .size:           8
        .value_kind:     hidden_global_offset_z
      - .offset:         80
        .size:           2
        .value_kind:     hidden_grid_dims
    .group_segment_fixed_size: 0
    .kernarg_segment_align: 8
    .kernarg_segment_size: 272
    .language:       OpenCL C
    .language_version:
      - 2
      - 0
    .max_flat_workgroup_size: 1024
    .name:           _Z12atomicKernelPii
    .private_segment_fixed_size: 0
    .sgpr_count:     14
    .sgpr_spill_count: 0
    .symbol:         _Z12atomicKernelPii.kd
    .uniform_work_group_size: 1
    .uses_dynamic_stack: false
    .vgpr_count:     7
    .vgpr_spill_count: 0
    .wavefront_size: 64
amdhsa.target:   amdgcn-amd-amdhsa--gfx906
amdhsa.version:
  - 1
  - 2
...

	.end_amdgpu_metadata
